;; amdgpu-corpus repo=ROCm/rocFFT kind=compiled arch=gfx950 opt=O3
	.text
	.amdgcn_target "amdgcn-amd-amdhsa--gfx950"
	.amdhsa_code_object_version 6
	.protected	fft_rtc_back_len192_factors_8_6_4_wgs_480_tpt_48_half_op_CI_CI_sbcc_twdbase6_3step_dirReg_intrinsicRead ; -- Begin function fft_rtc_back_len192_factors_8_6_4_wgs_480_tpt_48_half_op_CI_CI_sbcc_twdbase6_3step_dirReg_intrinsicRead
	.globl	fft_rtc_back_len192_factors_8_6_4_wgs_480_tpt_48_half_op_CI_CI_sbcc_twdbase6_3step_dirReg_intrinsicRead
	.p2align	8
	.type	fft_rtc_back_len192_factors_8_6_4_wgs_480_tpt_48_half_op_CI_CI_sbcc_twdbase6_3step_dirReg_intrinsicRead,@function
fft_rtc_back_len192_factors_8_6_4_wgs_480_tpt_48_half_op_CI_CI_sbcc_twdbase6_3step_dirReg_intrinsicRead: ; @fft_rtc_back_len192_factors_8_6_4_wgs_480_tpt_48_half_op_CI_CI_sbcc_twdbase6_3step_dirReg_intrinsicRead
; %bb.0:
	s_load_dwordx8 s[4:11], s[0:1], 0x8
	s_load_dwordx2 s[30:31], s[0:1], 0x28
	s_movk_i32 s3, 0xc0
	v_cmp_gt_u32_e32 vcc, s3, v0
	s_and_saveexec_b64 s[12:13], vcc
	s_cbranch_execz .LBB0_2
; %bb.1:
	v_lshlrev_b32_e32 v1, 2, v0
	s_waitcnt lgkmcnt(0)
	global_load_dword v2, v1, s[4:5]
	v_add_u32_e32 v1, 0, v1
	s_waitcnt vmcnt(0)
	ds_write_b32 v1, v2 offset:7680
.LBB0_2:
	s_or_b64 exec, exec, s[12:13]
	s_waitcnt lgkmcnt(0)
	s_load_dwordx2 s[28:29], s[8:9], 0x8
	s_mov_b32 s3, 0
	s_mov_b64 s[24:25], 0
	s_waitcnt lgkmcnt(0)
	s_add_u32 s4, s28, -1
	s_addc_u32 s5, s29, -1
	s_add_u32 s12, 0, 0x99986000
	s_addc_u32 s13, 0, 0x59
	s_mul_hi_u32 s15, s12, -10
	s_add_i32 s13, s13, 0x19999940
	s_sub_i32 s15, s15, s12
	s_mul_i32 s18, s13, -10
	s_mul_i32 s14, s12, -10
	s_add_i32 s15, s15, s18
	s_mul_hi_u32 s16, s13, s14
	s_mul_i32 s17, s13, s14
	s_mul_i32 s19, s12, s15
	s_mul_hi_u32 s14, s12, s14
	s_mul_hi_u32 s18, s12, s15
	s_add_u32 s14, s14, s19
	s_addc_u32 s18, 0, s18
	s_add_u32 s14, s14, s17
	s_mul_hi_u32 s19, s13, s15
	s_addc_u32 s14, s18, s16
	s_addc_u32 s16, s19, 0
	s_mul_i32 s15, s13, s15
	s_add_u32 s14, s14, s15
	v_mov_b32_e32 v1, s14
	s_addc_u32 s15, 0, s16
	v_add_co_u32_e32 v1, vcc, s12, v1
	s_cmp_lg_u64 vcc, 0
	s_addc_u32 s12, s13, s15
	v_readfirstlane_b32 s15, v1
	s_mul_i32 s14, s4, s12
	s_mul_hi_u32 s16, s4, s15
	s_mul_hi_u32 s13, s4, s12
	s_add_u32 s14, s16, s14
	s_addc_u32 s13, 0, s13
	s_mul_hi_u32 s17, s5, s15
	s_mul_i32 s15, s5, s15
	s_add_u32 s14, s14, s15
	s_mul_hi_u32 s16, s5, s12
	s_addc_u32 s13, s13, s17
	s_addc_u32 s14, s16, 0
	s_mul_i32 s12, s5, s12
	s_add_u32 s12, s13, s12
	s_addc_u32 s13, 0, s14
	s_add_u32 s14, s12, 1
	s_addc_u32 s15, s13, 0
	s_add_u32 s16, s12, 2
	s_mul_i32 s18, s13, 10
	s_mul_hi_u32 s19, s12, 10
	s_addc_u32 s17, s13, 0
	s_add_i32 s19, s19, s18
	s_mul_i32 s18, s12, 10
	v_mov_b32_e32 v1, s18
	v_sub_co_u32_e32 v1, vcc, s4, v1
	s_cmp_lg_u64 vcc, 0
	s_subb_u32 s4, s5, s19
	v_subrev_co_u32_e32 v2, vcc, 10, v1
	s_cmp_lg_u64 vcc, 0
	s_subb_u32 s5, s4, 0
	v_readfirstlane_b32 s18, v2
	s_cmp_gt_u32 s18, 9
	s_cselect_b32 s18, -1, 0
	s_cmp_eq_u32 s5, 0
	s_cselect_b32 s5, s18, -1
	s_cmp_lg_u32 s5, 0
	s_cselect_b32 s5, s16, s14
	s_cselect_b32 s14, s17, s15
	v_readfirstlane_b32 s15, v1
	s_cmp_gt_u32 s15, 9
	s_cselect_b32 s15, -1, 0
	s_cmp_eq_u32 s4, 0
	s_cselect_b32 s4, s15, -1
	s_cmp_lg_u32 s4, 0
	s_cselect_b32 s5, s5, s12
	s_cselect_b32 s4, s14, s13
	s_add_u32 s34, s5, 1
	s_addc_u32 s35, s4, 0
	v_mov_b64_e32 v[2:3], s[34:35]
	v_cmp_lt_u64_e32 vcc, s[2:3], v[2:3]
	s_cbranch_vccnz .LBB0_4
; %bb.3:
	v_cvt_f32_u32_e32 v1, s34
	s_sub_i32 s4, 0, s34
	s_mov_b32 s25, s3
	v_rcp_iflag_f32_e32 v1, v1
	s_nop 0
	v_mul_f32_e32 v1, 0x4f7ffffe, v1
	v_cvt_u32_f32_e32 v1, v1
	s_nop 0
	v_readfirstlane_b32 s5, v1
	s_mul_i32 s4, s4, s5
	s_mul_hi_u32 s4, s5, s4
	s_add_i32 s5, s5, s4
	s_mul_hi_u32 s4, s2, s5
	s_mul_i32 s12, s4, s34
	s_sub_i32 s12, s2, s12
	s_add_i32 s5, s4, 1
	s_sub_i32 s13, s12, s34
	s_cmp_ge_u32 s12, s34
	s_cselect_b32 s4, s5, s4
	s_cselect_b32 s12, s13, s12
	s_add_i32 s5, s4, 1
	s_cmp_ge_u32 s12, s34
	s_cselect_b32 s24, s5, s4
.LBB0_4:
	s_load_dwordx4 s[16:19], s[0:1], 0x60
	s_load_dwordx2 s[26:27], s[0:1], 0x0
	s_load_dwordx4 s[20:23], s[10:11], 0x0
	s_load_dwordx4 s[12:15], s[30:31], 0x0
	s_mul_i32 s0, s24, s35
	s_mul_hi_u32 s1, s24, s34
	s_add_i32 s1, s1, s0
	s_mul_i32 s0, s24, s34
	s_sub_u32 s0, s2, s0
	s_subb_u32 s1, 0, s1
	s_mul_i32 s1, s1, 10
	s_mul_hi_u32 s4, s0, 10
	s_add_i32 s37, s4, s1
	s_mul_i32 s36, s0, 10
	s_waitcnt lgkmcnt(0)
	s_mul_i32 s0, s22, s37
	s_mul_hi_u32 s1, s22, s36
	s_add_i32 s0, s1, s0
	s_mul_i32 s1, s23, s36
	s_add_i32 s23, s0, s1
	s_mul_i32 s0, s14, s37
	s_mul_hi_u32 s1, s14, s36
	s_add_i32 s0, s1, s0
	s_mul_i32 s1, s15, s36
	s_add_i32 s5, s0, s1
	v_cmp_lt_u64_e64 s[0:1], s[6:7], 3
	s_mul_i32 s21, s22, s36
	s_mul_i32 s4, s14, s36
	s_and_b64 vcc, exec, s[0:1]
	s_cbranch_vccnz .LBB0_14
; %bb.5:
	s_add_u32 s38, s30, 16
	s_addc_u32 s39, s31, 0
	s_add_u32 s40, s10, 16
	s_addc_u32 s41, s11, 0
	;; [unrolled: 2-line block ×3, first 2 shown]
	s_mov_b64 s[42:43], 2
	s_mov_b32 s44, 0
	v_mov_b64_e32 v[2:3], s[6:7]
.LBB0_6:                                ; =>This Inner Loop Header: Depth=1
	s_load_dwordx2 s[46:47], s[8:9], 0x0
	s_waitcnt lgkmcnt(0)
	s_or_b64 s[0:1], s[24:25], s[46:47]
	s_mov_b32 s45, s1
	s_cmp_lg_u64 s[44:45], 0
	s_cbranch_scc0 .LBB0_11
; %bb.7:                                ;   in Loop: Header=BB0_6 Depth=1
	v_cvt_f32_u32_e32 v1, s46
	v_cvt_f32_u32_e32 v4, s47
	s_sub_u32 s0, 0, s46
	s_subb_u32 s1, 0, s47
	v_fmac_f32_e32 v1, 0x4f800000, v4
	v_rcp_f32_e32 v1, v1
	s_nop 0
	v_mul_f32_e32 v1, 0x5f7ffffc, v1
	v_mul_f32_e32 v4, 0x2f800000, v1
	v_trunc_f32_e32 v4, v4
	v_fmac_f32_e32 v1, 0xcf800000, v4
	v_cvt_u32_f32_e32 v4, v4
	v_cvt_u32_f32_e32 v1, v1
	v_readfirstlane_b32 s33, v4
	v_readfirstlane_b32 s45, v1
	s_mul_i32 s48, s0, s33
	s_mul_hi_u32 s50, s0, s45
	s_mul_i32 s49, s1, s45
	s_add_i32 s48, s50, s48
	s_mul_i32 s51, s0, s45
	s_add_i32 s48, s48, s49
	s_mul_hi_u32 s49, s45, s48
	s_mul_i32 s50, s45, s48
	s_mul_hi_u32 s45, s45, s51
	s_add_u32 s45, s45, s50
	s_addc_u32 s49, 0, s49
	s_mul_hi_u32 s52, s33, s51
	s_mul_i32 s51, s33, s51
	s_add_u32 s45, s45, s51
	s_mul_hi_u32 s50, s33, s48
	s_addc_u32 s45, s49, s52
	s_addc_u32 s49, s50, 0
	s_mul_i32 s48, s33, s48
	s_add_u32 s45, s45, s48
	s_addc_u32 s48, 0, s49
	v_add_co_u32_e32 v1, vcc, s45, v1
	s_cmp_lg_u64 vcc, 0
	s_addc_u32 s33, s33, s48
	v_readfirstlane_b32 s48, v1
	s_mul_i32 s45, s0, s33
	s_mul_hi_u32 s49, s0, s48
	s_add_i32 s45, s49, s45
	s_mul_i32 s1, s1, s48
	s_add_i32 s45, s45, s1
	s_mul_i32 s0, s0, s48
	s_mul_hi_u32 s49, s33, s0
	s_mul_i32 s50, s33, s0
	s_mul_i32 s52, s48, s45
	s_mul_hi_u32 s0, s48, s0
	s_mul_hi_u32 s51, s48, s45
	s_add_u32 s0, s0, s52
	s_addc_u32 s48, 0, s51
	s_add_u32 s0, s0, s50
	s_mul_hi_u32 s1, s33, s45
	s_addc_u32 s0, s48, s49
	s_addc_u32 s1, s1, 0
	s_mul_i32 s45, s33, s45
	s_add_u32 s0, s0, s45
	s_addc_u32 s1, 0, s1
	v_add_co_u32_e32 v1, vcc, s0, v1
	s_cmp_lg_u64 vcc, 0
	s_addc_u32 s0, s33, s1
	v_readfirstlane_b32 s45, v1
	s_mul_i32 s33, s24, s0
	s_mul_hi_u32 s48, s24, s45
	s_mul_hi_u32 s1, s24, s0
	s_add_u32 s33, s48, s33
	s_addc_u32 s1, 0, s1
	s_mul_hi_u32 s49, s25, s45
	s_mul_i32 s45, s25, s45
	s_add_u32 s33, s33, s45
	s_mul_hi_u32 s48, s25, s0
	s_addc_u32 s1, s1, s49
	s_addc_u32 s33, s48, 0
	s_mul_i32 s0, s25, s0
	s_add_u32 s45, s1, s0
	s_addc_u32 s33, 0, s33
	s_mul_i32 s0, s46, s33
	s_mul_hi_u32 s1, s46, s45
	s_add_i32 s0, s1, s0
	s_mul_i32 s1, s47, s45
	s_add_i32 s48, s0, s1
	s_mul_i32 s1, s46, s45
	v_mov_b32_e32 v1, s1
	s_sub_i32 s0, s25, s48
	v_sub_co_u32_e32 v1, vcc, s24, v1
	s_cmp_lg_u64 vcc, 0
	s_subb_u32 s49, s0, s47
	v_subrev_co_u32_e64 v4, s[0:1], s46, v1
	s_cmp_lg_u64 s[0:1], 0
	s_subb_u32 s0, s49, 0
	s_cmp_ge_u32 s0, s47
	v_readfirstlane_b32 s49, v4
	s_cselect_b32 s1, -1, 0
	s_cmp_ge_u32 s49, s46
	s_cselect_b32 s49, -1, 0
	s_cmp_eq_u32 s0, s47
	s_cselect_b32 s0, s49, s1
	s_add_u32 s1, s45, 1
	s_addc_u32 s49, s33, 0
	s_add_u32 s50, s45, 2
	s_addc_u32 s51, s33, 0
	s_cmp_lg_u32 s0, 0
	s_cselect_b32 s0, s50, s1
	s_cselect_b32 s1, s51, s49
	s_cmp_lg_u64 vcc, 0
	s_subb_u32 s48, s25, s48
	s_cmp_ge_u32 s48, s47
	v_readfirstlane_b32 s50, v1
	s_cselect_b32 s49, -1, 0
	s_cmp_ge_u32 s50, s46
	s_cselect_b32 s50, -1, 0
	s_cmp_eq_u32 s48, s47
	s_cselect_b32 s48, s50, s49
	s_cmp_lg_u32 s48, 0
	s_cselect_b32 s1, s1, s33
	s_cselect_b32 s0, s0, s45
	s_cbranch_execnz .LBB0_9
.LBB0_8:                                ;   in Loop: Header=BB0_6 Depth=1
	v_cvt_f32_u32_e32 v1, s46
	s_sub_i32 s0, 0, s46
	v_rcp_iflag_f32_e32 v1, v1
	s_nop 0
	v_mul_f32_e32 v1, 0x4f7ffffe, v1
	v_cvt_u32_f32_e32 v1, v1
	s_nop 0
	v_readfirstlane_b32 s1, v1
	s_mul_i32 s0, s0, s1
	s_mul_hi_u32 s0, s1, s0
	s_add_i32 s1, s1, s0
	s_mul_hi_u32 s0, s24, s1
	s_mul_i32 s33, s0, s46
	s_sub_i32 s33, s24, s33
	s_add_i32 s1, s0, 1
	s_sub_i32 s45, s33, s46
	s_cmp_ge_u32 s33, s46
	s_cselect_b32 s0, s1, s0
	s_cselect_b32 s33, s45, s33
	s_add_i32 s1, s0, 1
	s_cmp_ge_u32 s33, s46
	s_cselect_b32 s0, s1, s0
	s_mov_b32 s1, s44
.LBB0_9:                                ;   in Loop: Header=BB0_6 Depth=1
	s_mul_i32 s33, s46, s35
	s_mul_hi_u32 s35, s46, s34
	s_add_i32 s33, s35, s33
	s_mul_i32 s35, s47, s34
	s_add_i32 s35, s33, s35
	s_mul_i32 s33, s0, s47
	s_mul_hi_u32 s45, s0, s46
	s_load_dwordx2 s[48:49], s[40:41], 0x0
	s_add_i32 s33, s45, s33
	s_mul_i32 s45, s1, s46
	s_add_i32 s33, s33, s45
	s_mul_i32 s45, s0, s46
	s_sub_u32 s45, s24, s45
	s_subb_u32 s33, s25, s33
	s_waitcnt lgkmcnt(0)
	s_mul_i32 s24, s48, s33
	s_mul_hi_u32 s25, s48, s45
	s_mul_i32 s34, s46, s34
	s_add_i32 s46, s25, s24
	s_load_dwordx2 s[24:25], s[38:39], 0x0
	s_mul_i32 s47, s49, s45
	s_add_i32 s46, s46, s47
	s_mul_i32 s47, s48, s45
	s_add_u32 s21, s47, s21
	s_addc_u32 s23, s46, s23
	s_waitcnt lgkmcnt(0)
	s_mul_i32 s33, s24, s33
	s_mul_hi_u32 s46, s24, s45
	s_add_i32 s33, s46, s33
	s_mul_i32 s25, s25, s45
	s_add_i32 s33, s33, s25
	s_mul_i32 s24, s24, s45
	s_add_u32 s4, s24, s4
	s_addc_u32 s5, s33, s5
	s_add_u32 s42, s42, 1
	s_addc_u32 s43, s43, 0
	;; [unrolled: 2-line block ×4, first 2 shown]
	s_add_u32 s8, s8, 8
	v_cmp_ge_u64_e32 vcc, s[42:43], v[2:3]
	s_addc_u32 s9, s9, 0
	s_cbranch_vccnz .LBB0_12
; %bb.10:                               ;   in Loop: Header=BB0_6 Depth=1
	s_mov_b64 s[24:25], s[0:1]
	s_branch .LBB0_6
.LBB0_11:                               ;   in Loop: Header=BB0_6 Depth=1
                                        ; implicit-def: $sgpr0_sgpr1
	s_branch .LBB0_8
.LBB0_12:
	v_mov_b64_e32 v[2:3], s[34:35]
	v_cmp_lt_u64_e32 vcc, s[2:3], v[2:3]
	s_mov_b64 s[24:25], 0
	s_cbranch_vccnz .LBB0_14
; %bb.13:
	v_cvt_f32_u32_e32 v1, s34
	s_sub_i32 s0, 0, s34
	v_rcp_iflag_f32_e32 v1, v1
	s_nop 0
	v_mul_f32_e32 v1, 0x4f7ffffe, v1
	v_cvt_u32_f32_e32 v1, v1
	s_nop 0
	v_readfirstlane_b32 s1, v1
	s_mul_i32 s0, s0, s1
	s_mul_hi_u32 s0, s1, s0
	s_add_i32 s1, s1, s0
	s_mul_hi_u32 s0, s2, s1
	s_mul_i32 s3, s0, s34
	s_sub_i32 s2, s2, s3
	s_add_i32 s1, s0, 1
	s_sub_i32 s3, s2, s34
	s_cmp_ge_u32 s2, s34
	s_cselect_b32 s0, s1, s0
	s_cselect_b32 s2, s3, s2
	s_add_i32 s1, s0, 1
	s_cmp_ge_u32 s2, s34
	s_cselect_b32 s24, s1, s0
.LBB0_14:
	s_lshl_b64 s[0:1], s[6:7], 3
	s_add_u32 s2, s10, s0
	s_addc_u32 s3, s11, s1
	s_load_dwordx2 s[2:3], s[2:3], 0x0
	s_waitcnt lgkmcnt(0)
	s_mov_b32 s3, 0x1999999a
	v_mul_hi_u32 v1, v0, s3
	v_mul_u32_u24_e32 v2, 10, v1
	v_sub_u32_e32 v2, v0, v2
	s_mul_i32 s2, s2, s24
	s_add_u32 s10, s2, s21
	s_add_u32 s6, s30, s0
	s_addc_u32 s7, s31, s1
	s_add_u32 s0, s36, 10
	s_addc_u32 s1, s37, 0
	v_mov_b64_e32 v[6:7], s[28:29]
	v_cmp_le_u64_e32 vcc, s[0:1], v[6:7]
	v_mad_u64_u32 v[6:7], s[0:1], s22, v2, 0
	v_mov_b32_e32 v3, 0
	s_movk_i32 s0, 0xf0
	s_movk_i32 s1, 0xef
	v_lshl_add_u64 v[4:5], s[36:37], 0, v[2:3]
	v_cmp_lt_u32_e64 s[2:3], s1, v0
	v_cmp_gt_u32_e64 s[0:1], s0, v0
	s_or_b64 s[2:3], s[2:3], vcc
	s_nop 0
	v_cndmask_b32_e64 v7, 0, 1, s[0:1]
	v_cmp_gt_u64_e64 s[0:1], s[28:29], v[4:5]
	s_nop 1
	v_cndmask_b32_e64 v5, 0, 1, s[0:1]
	v_cndmask_b32_e64 v5, v5, v7, s[2:3]
	v_and_b32_e32 v5, 1, v5
	v_cmp_eq_u32_e64 s[2:3], 1, v5
	v_mov_b32_e32 v5, v3
	s_and_saveexec_b64 s[8:9], s[2:3]
	s_cbranch_execz .LBB0_16
; %bb.15:
	v_mul_lo_u32 v5, s20, v1
	v_add3_u32 v8, s10, v6, v5
	v_mov_b32_e32 v9, 0
	v_lshl_add_u64 v[8:9], v[8:9], 2, s[16:17]
	global_load_dword v5, v[8:9], off
.LBB0_16:
	s_or_b64 exec, exec, s[8:9]
	s_and_saveexec_b64 s[8:9], s[2:3]
	s_cbranch_execz .LBB0_18
; %bb.17:
	v_add_u32_e32 v3, 24, v1
	v_mul_lo_u32 v3, s20, v3
	v_add3_u32 v8, s10, v6, v3
	v_mov_b32_e32 v9, 0
	v_lshl_add_u64 v[8:9], v[8:9], 2, s[16:17]
	global_load_dword v3, v[8:9], off
.LBB0_18:
	s_or_b64 exec, exec, s[8:9]
	v_mov_b32_e32 v7, 0
	v_mov_b32_e32 v8, 0
	s_and_saveexec_b64 s[8:9], s[2:3]
	s_cbranch_execz .LBB0_20
; %bb.19:
	v_add_u32_e32 v8, 48, v1
	v_mul_lo_u32 v8, s20, v8
	v_add3_u32 v8, s10, v6, v8
	v_mov_b32_e32 v9, 0
	v_lshl_add_u64 v[8:9], v[8:9], 2, s[16:17]
	global_load_dword v8, v[8:9], off
.LBB0_20:
	s_or_b64 exec, exec, s[8:9]
	s_and_saveexec_b64 s[8:9], s[2:3]
	s_cbranch_execz .LBB0_22
; %bb.21:
	v_add_u32_e32 v7, 0x48, v1
	v_mul_lo_u32 v7, s20, v7
	v_add3_u32 v10, s10, v6, v7
	v_mov_b32_e32 v11, 0
	v_lshl_add_u64 v[10:11], v[10:11], 2, s[16:17]
	global_load_dword v7, v[10:11], off
.LBB0_22:
	s_or_b64 exec, exec, s[8:9]
	v_mov_b32_e32 v9, 0
	v_mov_b32_e32 v10, 0
	s_and_saveexec_b64 s[8:9], s[2:3]
	s_cbranch_execz .LBB0_24
; %bb.23:
	v_add_u32_e32 v10, 0x60, v1
	v_mul_lo_u32 v10, s20, v10
	v_add3_u32 v10, s10, v6, v10
	v_mov_b32_e32 v11, 0
	v_lshl_add_u64 v[10:11], v[10:11], 2, s[16:17]
	global_load_dword v10, v[10:11], off
.LBB0_24:
	;; [unrolled: 24-line block ×3, first 2 shown]
	s_or_b64 exec, exec, s[8:9]
	s_and_saveexec_b64 s[8:9], s[2:3]
	s_cbranch_execz .LBB0_30
; %bb.29:
	v_add_u32_e32 v11, 0xa8, v1
	v_mul_lo_u32 v11, s20, v11
	v_add3_u32 v14, s10, v6, v11
	v_mov_b32_e32 v15, 0
	v_lshl_add_u64 v[14:15], v[14:15], 2, s[16:17]
	global_load_dword v11, v[14:15], off
.LBB0_30:
	s_or_b64 exec, exec, s[8:9]
	s_waitcnt vmcnt(0)
	v_pk_add_f16 v6, v5, v10 neg_lo:[0,1] neg_hi:[0,1]
	v_pk_add_f16 v10, v8, v12 neg_lo:[0,1] neg_hi:[0,1]
	v_pk_fma_f16 v5, v5, 2.0, v6 op_sel_hi:[1,0,1] neg_lo:[0,0,1] neg_hi:[0,0,1]
	v_pk_fma_f16 v8, v8, 2.0, v10 op_sel_hi:[1,0,1] neg_lo:[0,0,1] neg_hi:[0,0,1]
	v_pk_add_f16 v9, v3, v9 neg_lo:[0,1] neg_hi:[0,1]
	v_pk_add_f16 v13, v5, v8 neg_lo:[0,1] neg_hi:[0,1]
	;; [unrolled: 1-line block ×3, first 2 shown]
	v_pk_fma_f16 v8, v5, 2.0, v13 op_sel_hi:[1,0,1] neg_lo:[0,0,1] neg_hi:[0,0,1]
	v_alignbit_b32 v5, s0, v10, 16
	v_pk_add_f16 v14, v6, v5
	v_lshrrev_b32_e32 v5, 16, v6
	v_pk_fma_f16 v3, v3, 2.0, v9 op_sel_hi:[1,0,1] neg_lo:[0,0,1] neg_hi:[0,0,1]
	v_pk_fma_f16 v7, v7, 2.0, v11 op_sel_hi:[1,0,1] neg_lo:[0,0,1] neg_hi:[0,0,1]
	v_sub_f16_e32 v18, v5, v10
	v_fma_f16 v12, v5, 2.0, -v18
	v_pk_add_f16 v15, v3, v7 neg_lo:[0,1] neg_hi:[0,1]
	v_add_f16_sdwa v17, v9, v11 dst_sel:DWORD dst_unused:UNUSED_PAD src0_sel:DWORD src1_sel:WORD_1
	v_lshrrev_b32_e32 v5, 16, v9
	v_fma_f16 v10, v6, 2.0, -v14
	v_pk_fma_f16 v3, v3, 2.0, v15 op_sel_hi:[1,0,1] neg_lo:[0,0,1] neg_hi:[0,0,1]
	v_sub_f16_e32 v16, v5, v11
	v_fma_f16 v7, v9, 2.0, -v17
	s_mov_b32 s2, 0xb9a8
	v_fma_f16 v9, v5, 2.0, -v16
	v_pk_add_f16 v5, v8, v3 neg_lo:[0,1] neg_hi:[0,1]
	v_fma_f16 v3, v7, s2, v10
	s_movk_i32 s3, 0x39a8
	v_pk_fma_f16 v6, v8, 2.0, v5 op_sel_hi:[1,0,1] neg_lo:[0,0,1] neg_hi:[0,0,1]
	v_fma_f16 v8, v9, s2, v12
	v_fma_f16 v9, v9, s3, v3
	v_alignbit_b32 v3, s0, v13, 16
	v_add_f16_sdwa v11, v13, v15 dst_sel:DWORD dst_unused:UNUSED_PAD src0_sel:DWORD src1_sel:WORD_1
	v_pk_add_f16 v15, v3, v15 neg_lo:[0,1] neg_hi:[0,1]
	v_fma_f16 v3, v17, s3, v14
	v_fma_f16 v19, v16, s3, v18
	;; [unrolled: 1-line block ×3, first 2 shown]
	s_mov_b32 s10, 0xffff
	v_fma_f16 v8, v7, s2, v8
	v_fma_f16 v7, v10, 2.0, -v9
	v_fma_f16 v10, v13, 2.0, -v11
	v_fma_f16 v17, v17, s2, v19
	v_bfi_b32 v3, s10, v14, v13
	v_pack_b32_f16 v13, v16, v15
	s_movk_i32 s2, 0xf0
	v_fma_f16 v12, v12, 2.0, -v8
	v_pk_fma_f16 v13, v3, 2.0, v13 op_sel_hi:[1,0,1] neg_lo:[0,0,1] neg_hi:[0,0,1]
	v_fma_f16 v14, v18, 2.0, -v17
	v_cmp_gt_u32_e64 s[2:3], s2, v0
	v_lshlrev_b32_e32 v3, 2, v2
	s_and_saveexec_b64 s[8:9], s[2:3]
	s_cbranch_execz .LBB0_32
; %bb.31:
	v_mul_u32_u24_e32 v18, 0x50, v1
	v_lshlrev_b32_e32 v18, 2, v18
	s_mov_b32 s2, 0x5040100
	v_add3_u32 v18, 0, v18, v3
	v_perm_b32 v19, v12, v7, s2
	ds_write2_b32 v18, v6, v19 offset1:10
	v_bfi_b32 v19, s10, v10, v13
	v_perm_b32 v20, v14, v13, s2
	ds_write2_b32 v18, v19, v20 offset0:20 offset1:30
	v_perm_b32 v19, v8, v9, s2
	v_perm_b32 v11, v15, v11, s2
	;; [unrolled: 1-line block ×3, first 2 shown]
	ds_write2_b32 v18, v5, v19 offset0:40 offset1:50
	ds_write2_b32 v18, v11, v15 offset0:60 offset1:70
.LBB0_32:
	s_or_b64 exec, exec, s[8:9]
	s_movk_i32 s2, 0x140
	s_mov_b32 s8, 0x5040100
	v_cmp_gt_u32_e64 s[2:3], s2, v0
	v_bfi_b32 v8, s10, v8, v5
	v_perm_b32 v11, v14, v5, s8
	v_mul_u32_u24_e32 v5, 40, v1
	s_waitcnt lgkmcnt(0)
	s_barrier
	s_and_saveexec_b64 s[8:9], s[2:3]
	s_cbranch_execz .LBB0_34
; %bb.33:
	v_add3_u32 v8, 0, v5, v3
	ds_read2st64_b32 v[6:7], v8 offset1:5
	ds_read2st64_b32 v[10:11], v8 offset0:10 offset1:15
	ds_read2st64_b32 v[8:9], v8 offset0:20 offset1:25
	s_waitcnt lgkmcnt(2)
	v_lshrrev_b32_e32 v12, 16, v7
	s_waitcnt lgkmcnt(1)
	v_bfi_b32 v13, s10, v11, v10
	s_waitcnt lgkmcnt(0)
	v_bfi_b32 v11, s10, v8, v11
	s_mov_b32 s10, 0x7060302
	v_perm_b32 v8, v8, v9, s10
.LBB0_34:
	s_or_b64 exec, exec, s[8:9]
	s_barrier
	s_and_saveexec_b64 s[8:9], s[2:3]
	s_cbranch_execz .LBB0_36
; %bb.35:
	v_and_b32_e32 v18, 7, v1
	v_mul_u32_u24_e32 v14, 5, v18
	v_lshlrev_b32_e32 v19, 2, v14
	global_load_dwordx4 v[14:17], v19, s[26:27]
	global_load_dword v20, v19, s[26:27] offset:16
	v_lshrrev_b32_e32 v19, 16, v13
	v_lshrrev_b32_e32 v21, 16, v8
	;; [unrolled: 1-line block ×4, first 2 shown]
	s_mov_b32 s2, 0xbaee
	s_movk_i32 s3, 0x3aee
	v_lshrrev_b32_e32 v24, 3, v1
	v_mul_u32_u24_e32 v24, 48, v24
	v_or_b32_e32 v18, v24, v18
	v_mul_u32_u24_e32 v18, 40, v18
	v_add3_u32 v18, 0, v18, v3
	v_add_u32_e32 v24, 0x400, v18
	s_waitcnt vmcnt(1)
	v_mul_f16_sdwa v25, v10, v15 dst_sel:DWORD dst_unused:UNUSED_PAD src0_sel:DWORD src1_sel:WORD_1
	v_mul_f16_sdwa v27, v19, v15 dst_sel:DWORD dst_unused:UNUSED_PAD src0_sel:DWORD src1_sel:WORD_1
	;; [unrolled: 1-line block ×3, first 2 shown]
	s_waitcnt vmcnt(0)
	v_mul_f16_sdwa v33, v9, v20 dst_sel:DWORD dst_unused:UNUSED_PAD src0_sel:DWORD src1_sel:WORD_1
	v_mul_f16_sdwa v26, v11, v17 dst_sel:DWORD dst_unused:UNUSED_PAD src0_sel:DWORD src1_sel:WORD_1
	;; [unrolled: 1-line block ×7, first 2 shown]
	v_fma_f16 v19, v19, v15, -v25
	v_fma_f16 v10, v10, v15, v27
	v_fma_f16 v15, v23, v16, -v32
	v_fma_f16 v8, v8, v20, -v33
	;; [unrolled: 1-line block ×3, first 2 shown]
	v_fma_f16 v11, v11, v17, v28
	v_fma_f16 v7, v7, v14, v29
	;; [unrolled: 1-line block ×4, first 2 shown]
	v_fma_f16 v12, v12, v14, -v34
	v_add_f16_e32 v23, v15, v8
	v_add_f16_e32 v14, v19, v21
	v_sub_f16_e32 v16, v10, v11
	v_add_f16_e32 v17, v13, v9
	v_sub_f16_e32 v20, v15, v8
	v_sub_f16_e32 v25, v13, v9
	v_add_f16_e32 v26, v22, v19
	v_add_f16_e32 v15, v12, v15
	;; [unrolled: 1-line block ×5, first 2 shown]
	v_fma_f16 v12, v23, -0.5, v12
	v_sub_f16_e32 v19, v19, v21
	v_fma_f16 v14, v14, -0.5, v22
	v_fma_f16 v7, v17, -0.5, v7
	v_add_f16_e32 v17, v26, v21
	v_add_f16_e32 v8, v15, v8
	v_fma_f16 v6, v27, -0.5, v6
	v_add_f16_e32 v10, v10, v11
	v_add_f16_e32 v9, v13, v9
	v_fma_f16 v15, v25, s2, v12
	v_fma_f16 v12, v25, s3, v12
	;; [unrolled: 1-line block ×6, first 2 shown]
	v_sub_f16_e32 v16, v17, v8
	v_fma_f16 v20, v19, s3, v6
	v_fma_f16 v6, v19, s2, v6
	v_sub_f16_e32 v19, v10, v9
	v_add_f16_e32 v8, v17, v8
	v_add_f16_e32 v9, v10, v9
	v_mul_f16_e32 v10, -0.5, v15
	v_mul_f16_e32 v17, 0.5, v12
	v_mul_f16_e32 v12, 0xbaee, v12
	v_mul_f16_e32 v15, 0xbaee, v15
	v_pack_b32_f16 v8, v9, v8
	v_pack_b32_f16 v9, v19, v16
	v_fma_f16 v10, v13, s3, v10
	v_fma_f16 v16, v7, s3, v17
	v_fma_f16 v7, v7, 0.5, v12
	v_fma_f16 v13, v13, -0.5, v15
	v_sub_f16_e32 v12, v11, v10
	v_sub_f16_e32 v19, v6, v7
	v_add_f16_e32 v10, v11, v10
	v_add_f16_e32 v11, v14, v16
	;; [unrolled: 1-line block ×3, first 2 shown]
	v_sub_f16_e32 v15, v14, v16
	v_sub_f16_e32 v17, v20, v13
	v_add_f16_e32 v13, v20, v13
	v_pack_b32_f16 v6, v6, v11
	v_pack_b32_f16 v7, v13, v10
	;; [unrolled: 1-line block ×4, first 2 shown]
	ds_write2_b32 v18, v8, v6 offset1:80
	ds_write2_b32 v18, v7, v9 offset0:160 offset1:240
	ds_write2_b32 v24, v10, v11 offset0:64 offset1:144
.LBB0_36:
	s_or_b64 exec, exec, s[8:9]
	s_or_b64 s[0:1], vcc, s[0:1]
	s_waitcnt lgkmcnt(0)
	s_barrier
	s_and_saveexec_b64 s[2:3], s[0:1]
	s_cbranch_execz .LBB0_38
; %bb.37:
	s_mov_b32 s0, 0x5555556
	v_mul_hi_u32 v6, v1, s0
	v_mul_u32_u24_e32 v6, 48, v6
	v_sub_u32_e32 v1, v1, v6
	v_mul_u32_u24_e32 v6, 3, v1
	v_lshlrev_b32_e32 v6, 2, v6
	global_load_dwordx3 v[6:8], v6, s[26:27] offset:160
	s_movk_i32 s3, 0xffd0
	v_add_u32_e32 v12, 0x90, v1
	v_mul_lo_u32 v11, v4, s3
	v_mul_lo_u32 v12, v12, v4
	v_lshrrev_b32_e32 v17, 10, v12
	v_and_b32_e32 v18, 63, v12
	v_lshrrev_b32_e32 v19, 4, v12
	v_add_u32_e32 v12, v12, v11
	s_add_i32 s2, 0, 0x1e00
	v_and_b32_e32 v17, 0xfc, v17
	v_and_b32_e32 v19, 0xfc, v19
	v_lshrrev_b32_e32 v20, 10, v12
	v_and_b32_e32 v21, 63, v12
	v_lshrrev_b32_e32 v22, 4, v12
	v_add_u32_e32 v11, v12, v11
	v_add3_u32 v3, 0, v5, v3
	v_add_u32_e32 v12, s2, v17
	v_add_u32_e32 v17, s2, v19
	v_and_b32_e32 v19, 0xfc, v20
	v_lshl_add_u32 v20, v21, 2, 0
	v_and_b32_e32 v21, 0xfc, v22
	v_lshrrev_b32_e32 v22, 10, v11
	s_load_dwordx2 s[0:1], s[6:7], 0x0
	ds_read_b32 v5, v3
	ds_read_b32 v9, v3 offset:5760
	ds_read_b32 v10, v3 offset:3840
	;; [unrolled: 1-line block ×3, first 2 shown]
	v_and_b32_e32 v23, 63, v11
	v_and_b32_e32 v22, 0xfc, v22
	v_lshl_add_u32 v18, v18, 2, 0
	v_add_u32_e32 v19, s2, v19
	v_add_u32_e32 v21, s2, v21
	v_lshl_add_u32 v23, v23, 2, 0
	v_add_u32_e32 v22, s2, v22
	ds_read_b32 v12, v12 offset:512
	ds_read_b32 v18, v18 offset:7680
	;; [unrolled: 1-line block ×8, first 2 shown]
	s_waitcnt lgkmcnt(0)
	v_lshrrev_b32_e32 v24, 16, v18
	v_mul_f16_sdwa v25, v18, v17 dst_sel:DWORD dst_unused:UNUSED_PAD src0_sel:DWORD src1_sel:WORD_1
	v_mul_f16_sdwa v26, v24, v17 dst_sel:DWORD dst_unused:UNUSED_PAD src0_sel:DWORD src1_sel:WORD_1
	v_fma_f16 v24, v24, v17, v25
	v_fma_f16 v17, v18, v17, -v26
	v_mul_f16_sdwa v18, v24, v12 dst_sel:DWORD dst_unused:UNUSED_PAD src0_sel:DWORD src1_sel:WORD_1
	v_lshrrev_b32_e32 v14, 16, v10
	v_lshrrev_b32_e32 v15, 16, v3
	;; [unrolled: 1-line block ×3, first 2 shown]
	v_fma_f16 v18, v12, v17, -v18
	v_mul_f16_sdwa v17, v17, v12 dst_sel:DWORD dst_unused:UNUSED_PAD src0_sel:DWORD src1_sel:WORD_1
	v_fma_f16 v12, v12, v24, v17
	v_lshrrev_b32_e32 v11, 4, v11
	v_lshrrev_b32_e32 v13, 16, v5
	;; [unrolled: 1-line block ×3, first 2 shown]
	v_and_b32_e32 v11, 0xfc, v11
	v_add_u32_e32 v11, s2, v11
	ds_read_b32 v11, v11 offset:256
	v_mul_lo_u32 v4, v1, v4
	s_mul_i32 s1, s1, s24
	s_mul_hi_u32 s3, s0, s24
	s_add_i32 s1, s3, s1
	v_mul_hi_u32_u24_e32 v0, 0x888889, v0
	v_mul_u32_u24_e32 v0, 0xc0, v0
	s_mul_i32 s0, s0, s24
	s_lshl_b64 s[0:1], s[0:1], 2
	s_waitcnt vmcnt(0)
	v_mul_f16_sdwa v17, v7, v10 dst_sel:DWORD dst_unused:UNUSED_PAD src0_sel:WORD_1 src1_sel:DWORD
	v_mul_f16_sdwa v24, v6, v15 dst_sel:DWORD dst_unused:UNUSED_PAD src0_sel:WORD_1 src1_sel:DWORD
	;; [unrolled: 1-line block ×6, first 2 shown]
	v_fma_f16 v14, v7, v14, -v17
	v_fma_f16 v3, v6, v3, v24
	v_fma_f16 v9, v8, v9, v26
	;; [unrolled: 1-line block ×3, first 2 shown]
	v_fma_f16 v6, v6, v15, -v28
	v_fma_f16 v8, v8, v16, -v29
	v_sub_f16_e32 v10, v13, v14
	v_sub_f16_e32 v9, v3, v9
	;; [unrolled: 1-line block ×4, first 2 shown]
	v_mul_f16_sdwa v16, v25, v21 dst_sel:DWORD dst_unused:UNUSED_PAD src0_sel:DWORD src1_sel:WORD_1
	v_sub_f16_e32 v14, v10, v9
	v_add_f16_e32 v15, v7, v8
	v_fma_f16 v16, v20, v21, -v16
	v_mul_f16_sdwa v17, v20, v21 dst_sel:DWORD dst_unused:UNUSED_PAD src0_sel:DWORD src1_sel:WORD_1
	v_fma_f16 v13, v13, 2.0, -v10
	v_fma_f16 v6, v6, 2.0, -v8
	v_mul_f16_e32 v8, v15, v12
	v_mul_f16_e32 v12, v14, v12
	v_fma_f16 v17, v25, v21, v17
	v_fma_f16 v5, v5, 2.0, -v7
	v_fma_f16 v3, v3, 2.0, -v9
	v_mul_f16_sdwa v9, v16, v19 dst_sel:DWORD dst_unused:UNUSED_PAD src0_sel:DWORD src1_sel:WORD_1
	v_sub_f16_e32 v6, v13, v6
	v_fma_f16 v8, v14, v18, -v8
	v_fma_f16 v12, v15, v18, v12
	v_mul_f16_sdwa v18, v17, v19 dst_sel:DWORD dst_unused:UNUSED_PAD src0_sel:DWORD src1_sel:WORD_1
	v_sub_f16_e32 v3, v5, v3
	v_fma_f16 v9, v19, v17, v9
	v_fma_f16 v18, v19, v16, -v18
	v_mul_f16_e32 v16, v3, v9
	v_mul_f16_e32 v9, v6, v9
	v_fma_f16 v16, v6, v18, -v16
	v_fma_f16 v9, v3, v18, v9
	v_fma_f16 v10, v10, 2.0, -v14
	v_lshrrev_b32_e32 v14, 16, v23
	v_lshrrev_b32_e32 v17, 10, v4
	v_and_b32_e32 v18, 63, v4
	v_lshrrev_b32_e32 v4, 4, v4
	v_and_b32_e32 v17, 0xfc, v17
	v_and_b32_e32 v4, 0xfc, v4
	s_waitcnt lgkmcnt(0)
	v_mul_f16_sdwa v19, v14, v11 dst_sel:DWORD dst_unused:UNUSED_PAD src0_sel:DWORD src1_sel:WORD_1
	v_add_u32_e32 v17, s2, v17
	v_lshl_add_u32 v18, v18, 2, 0
	v_add_u32_e32 v4, s2, v4
	v_fma_f16 v19, v23, v11, -v19
	v_mul_f16_sdwa v20, v23, v11 dst_sel:DWORD dst_unused:UNUSED_PAD src0_sel:DWORD src1_sel:WORD_1
	ds_read_b32 v17, v17 offset:512
	ds_read_b32 v18, v18 offset:7680
	;; [unrolled: 1-line block ×3, first 2 shown]
	v_fma_f16 v11, v14, v11, v20
	v_fma_f16 v7, v7, 2.0, -v15
	v_mul_f16_sdwa v15, v19, v22 dst_sel:DWORD dst_unused:UNUSED_PAD src0_sel:DWORD src1_sel:WORD_1
	v_mul_f16_sdwa v14, v11, v22 dst_sel:DWORD dst_unused:UNUSED_PAD src0_sel:DWORD src1_sel:WORD_1
	v_fma_f16 v11, v22, v11, v15
	v_fma_f16 v14, v22, v19, -v14
	v_mul_f16_e32 v15, v7, v11
	v_fma_f16 v15, v10, v14, -v15
	v_mul_f16_e32 v10, v10, v11
	v_fma_f16 v7, v7, v14, v10
	s_waitcnt lgkmcnt(1)
	v_lshrrev_b32_e32 v10, 16, v18
	s_waitcnt lgkmcnt(0)
	v_mul_f16_sdwa v11, v10, v4 dst_sel:DWORD dst_unused:UNUSED_PAD src0_sel:DWORD src1_sel:WORD_1
	v_fma_f16 v6, v13, 2.0, -v6
	v_fma_f16 v11, v18, v4, -v11
	v_mul_f16_sdwa v13, v18, v4 dst_sel:DWORD dst_unused:UNUSED_PAD src0_sel:DWORD src1_sel:WORD_1
	v_fma_f16 v4, v10, v4, v13
	v_fma_f16 v3, v5, 2.0, -v3
	v_mul_f16_sdwa v5, v11, v17 dst_sel:DWORD dst_unused:UNUSED_PAD src0_sel:DWORD src1_sel:WORD_1
	v_mul_f16_sdwa v10, v4, v17 dst_sel:DWORD dst_unused:UNUSED_PAD src0_sel:DWORD src1_sel:WORD_1
	v_fma_f16 v4, v17, v4, v5
	v_fma_f16 v10, v17, v11, -v10
	v_mul_f16_e32 v5, v3, v4
	v_mul_f16_e32 v4, v6, v4
	v_fma_f16 v11, v6, v10, -v5
	v_fma_f16 v10, v3, v10, v4
	v_mad_u64_u32 v[4:5], s[2:3], s14, v2, 0
	v_mov_b32_e32 v6, v5
	v_mad_u64_u32 v[2:3], s[2:3], s15, v2, v[6:7]
	v_or_b32_e32 v6, v0, v1
	v_mad_u64_u32 v[0:1], s[2:3], s12, v6, 0
	v_mov_b32_e32 v5, v2
	v_mov_b32_e32 v2, v1
	v_mad_u64_u32 v[2:3], s[2:3], s13, v6, v[2:3]
	s_add_u32 s2, s18, s0
	s_addc_u32 s3, s19, s1
	s_lshl_b64 s[0:1], s[4:5], 2
	s_add_u32 s0, s2, s0
	s_addc_u32 s1, s3, s1
	v_mov_b32_e32 v1, v2
	v_lshl_add_u64 v[2:3], v[4:5], 2, s[0:1]
	v_lshl_add_u64 v[0:1], v[0:1], 2, v[2:3]
	v_pack_b32_f16 v4, v10, v11
	v_add_u32_e32 v5, 48, v6
	global_store_dword v[0:1], v4, off
	v_mad_u64_u32 v[0:1], s[0:1], s12, v5, 0
	v_mov_b32_e32 v4, v1
	v_mad_u64_u32 v[4:5], s[0:1], s13, v5, v[4:5]
	v_mov_b32_e32 v1, v4
	v_lshl_add_u64 v[0:1], v[0:1], 2, v[2:3]
	v_pack_b32_f16 v4, v7, v15
	v_add_u32_e32 v5, 0x60, v6
	global_store_dword v[0:1], v4, off
	v_mad_u64_u32 v[0:1], s[0:1], s12, v5, 0
	v_mov_b32_e32 v4, v1
	v_mad_u64_u32 v[4:5], s[0:1], s13, v5, v[4:5]
	v_mov_b32_e32 v1, v4
	;; [unrolled: 8-line block ×3, first 2 shown]
	v_lshl_add_u64 v[0:1], v[0:1], 2, v[2:3]
	v_pack_b32_f16 v2, v12, v8
	global_store_dword v[0:1], v2, off
.LBB0_38:
	s_endpgm
	.section	.rodata,"a",@progbits
	.p2align	6, 0x0
	.amdhsa_kernel fft_rtc_back_len192_factors_8_6_4_wgs_480_tpt_48_half_op_CI_CI_sbcc_twdbase6_3step_dirReg_intrinsicRead
		.amdhsa_group_segment_fixed_size 0
		.amdhsa_private_segment_fixed_size 0
		.amdhsa_kernarg_size 112
		.amdhsa_user_sgpr_count 2
		.amdhsa_user_sgpr_dispatch_ptr 0
		.amdhsa_user_sgpr_queue_ptr 0
		.amdhsa_user_sgpr_kernarg_segment_ptr 1
		.amdhsa_user_sgpr_dispatch_id 0
		.amdhsa_user_sgpr_kernarg_preload_length 0
		.amdhsa_user_sgpr_kernarg_preload_offset 0
		.amdhsa_user_sgpr_private_segment_size 0
		.amdhsa_uses_dynamic_stack 0
		.amdhsa_enable_private_segment 0
		.amdhsa_system_sgpr_workgroup_id_x 1
		.amdhsa_system_sgpr_workgroup_id_y 0
		.amdhsa_system_sgpr_workgroup_id_z 0
		.amdhsa_system_sgpr_workgroup_info 0
		.amdhsa_system_vgpr_workitem_id 0
		.amdhsa_next_free_vgpr 35
		.amdhsa_next_free_sgpr 53
		.amdhsa_accum_offset 36
		.amdhsa_reserve_vcc 1
		.amdhsa_float_round_mode_32 0
		.amdhsa_float_round_mode_16_64 0
		.amdhsa_float_denorm_mode_32 3
		.amdhsa_float_denorm_mode_16_64 3
		.amdhsa_dx10_clamp 1
		.amdhsa_ieee_mode 1
		.amdhsa_fp16_overflow 0
		.amdhsa_tg_split 0
		.amdhsa_exception_fp_ieee_invalid_op 0
		.amdhsa_exception_fp_denorm_src 0
		.amdhsa_exception_fp_ieee_div_zero 0
		.amdhsa_exception_fp_ieee_overflow 0
		.amdhsa_exception_fp_ieee_underflow 0
		.amdhsa_exception_fp_ieee_inexact 0
		.amdhsa_exception_int_div_zero 0
	.end_amdhsa_kernel
	.text
.Lfunc_end0:
	.size	fft_rtc_back_len192_factors_8_6_4_wgs_480_tpt_48_half_op_CI_CI_sbcc_twdbase6_3step_dirReg_intrinsicRead, .Lfunc_end0-fft_rtc_back_len192_factors_8_6_4_wgs_480_tpt_48_half_op_CI_CI_sbcc_twdbase6_3step_dirReg_intrinsicRead
                                        ; -- End function
	.section	.AMDGPU.csdata,"",@progbits
; Kernel info:
; codeLenInByte = 4824
; NumSgprs: 59
; NumVgprs: 35
; NumAgprs: 0
; TotalNumVgprs: 35
; ScratchSize: 0
; MemoryBound: 0
; FloatMode: 240
; IeeeMode: 1
; LDSByteSize: 0 bytes/workgroup (compile time only)
; SGPRBlocks: 7
; VGPRBlocks: 4
; NumSGPRsForWavesPerEU: 59
; NumVGPRsForWavesPerEU: 35
; AccumOffset: 36
; Occupancy: 8
; WaveLimiterHint : 1
; COMPUTE_PGM_RSRC2:SCRATCH_EN: 0
; COMPUTE_PGM_RSRC2:USER_SGPR: 2
; COMPUTE_PGM_RSRC2:TRAP_HANDLER: 0
; COMPUTE_PGM_RSRC2:TGID_X_EN: 1
; COMPUTE_PGM_RSRC2:TGID_Y_EN: 0
; COMPUTE_PGM_RSRC2:TGID_Z_EN: 0
; COMPUTE_PGM_RSRC2:TIDIG_COMP_CNT: 0
; COMPUTE_PGM_RSRC3_GFX90A:ACCUM_OFFSET: 8
; COMPUTE_PGM_RSRC3_GFX90A:TG_SPLIT: 0
	.text
	.p2alignl 6, 3212836864
	.fill 256, 4, 3212836864
	.type	__hip_cuid_d061c931a29e1c9,@object ; @__hip_cuid_d061c931a29e1c9
	.section	.bss,"aw",@nobits
	.globl	__hip_cuid_d061c931a29e1c9
__hip_cuid_d061c931a29e1c9:
	.byte	0                               ; 0x0
	.size	__hip_cuid_d061c931a29e1c9, 1

	.ident	"AMD clang version 19.0.0git (https://github.com/RadeonOpenCompute/llvm-project roc-6.4.0 25133 c7fe45cf4b819c5991fe208aaa96edf142730f1d)"
	.section	".note.GNU-stack","",@progbits
	.addrsig
	.addrsig_sym __hip_cuid_d061c931a29e1c9
	.amdgpu_metadata
---
amdhsa.kernels:
  - .agpr_count:     0
    .args:
      - .actual_access:  read_only
        .address_space:  global
        .offset:         0
        .size:           8
        .value_kind:     global_buffer
      - .address_space:  global
        .offset:         8
        .size:           8
        .value_kind:     global_buffer
      - .offset:         16
        .size:           8
        .value_kind:     by_value
      - .actual_access:  read_only
        .address_space:  global
        .offset:         24
        .size:           8
        .value_kind:     global_buffer
      - .actual_access:  read_only
        .address_space:  global
        .offset:         32
        .size:           8
        .value_kind:     global_buffer
      - .actual_access:  read_only
        .address_space:  global
        .offset:         40
        .size:           8
        .value_kind:     global_buffer
      - .offset:         48
        .size:           8
        .value_kind:     by_value
      - .actual_access:  read_only
        .address_space:  global
        .offset:         56
        .size:           8
        .value_kind:     global_buffer
      - .actual_access:  read_only
        .address_space:  global
        .offset:         64
        .size:           8
        .value_kind:     global_buffer
      - .offset:         72
        .size:           4
        .value_kind:     by_value
      - .actual_access:  read_only
        .address_space:  global
        .offset:         80
        .size:           8
        .value_kind:     global_buffer
      - .actual_access:  read_only
        .address_space:  global
        .offset:         88
        .size:           8
        .value_kind:     global_buffer
      - .actual_access:  read_only
        .address_space:  global
        .offset:         96
        .size:           8
        .value_kind:     global_buffer
      - .actual_access:  write_only
        .address_space:  global
        .offset:         104
        .size:           8
        .value_kind:     global_buffer
    .group_segment_fixed_size: 0
    .kernarg_segment_align: 8
    .kernarg_segment_size: 112
    .language:       OpenCL C
    .language_version:
      - 2
      - 0
    .max_flat_workgroup_size: 480
    .name:           fft_rtc_back_len192_factors_8_6_4_wgs_480_tpt_48_half_op_CI_CI_sbcc_twdbase6_3step_dirReg_intrinsicRead
    .private_segment_fixed_size: 0
    .sgpr_count:     59
    .sgpr_spill_count: 0
    .symbol:         fft_rtc_back_len192_factors_8_6_4_wgs_480_tpt_48_half_op_CI_CI_sbcc_twdbase6_3step_dirReg_intrinsicRead.kd
    .uniform_work_group_size: 1
    .uses_dynamic_stack: false
    .vgpr_count:     35
    .vgpr_spill_count: 0
    .wavefront_size: 64
amdhsa.target:   amdgcn-amd-amdhsa--gfx950
amdhsa.version:
  - 1
  - 2
...

	.end_amdgpu_metadata
